;; amdgpu-corpus repo=ROCm/rocFFT kind=compiled arch=gfx1201 opt=O3
	.text
	.amdgcn_target "amdgcn-amd-amdhsa--gfx1201"
	.amdhsa_code_object_version 6
	.protected	fft_rtc_fwd_len891_factors_9_11_3_3_wgs_198_tpt_99_halfLds_dp_ip_CI_unitstride_sbrr_dirReg ; -- Begin function fft_rtc_fwd_len891_factors_9_11_3_3_wgs_198_tpt_99_halfLds_dp_ip_CI_unitstride_sbrr_dirReg
	.globl	fft_rtc_fwd_len891_factors_9_11_3_3_wgs_198_tpt_99_halfLds_dp_ip_CI_unitstride_sbrr_dirReg
	.p2align	8
	.type	fft_rtc_fwd_len891_factors_9_11_3_3_wgs_198_tpt_99_halfLds_dp_ip_CI_unitstride_sbrr_dirReg,@function
fft_rtc_fwd_len891_factors_9_11_3_3_wgs_198_tpt_99_halfLds_dp_ip_CI_unitstride_sbrr_dirReg: ; @fft_rtc_fwd_len891_factors_9_11_3_3_wgs_198_tpt_99_halfLds_dp_ip_CI_unitstride_sbrr_dirReg
; %bb.0:
	s_clause 0x2
	s_load_b128 s[4:7], s[0:1], 0x0
	s_load_b64 s[8:9], s[0:1], 0x50
	s_load_b64 s[10:11], s[0:1], 0x18
	v_mul_u32_u24_e32 v1, 0x296, v0
	v_mov_b32_e32 v3, 0
	s_delay_alu instid0(VALU_DEP_2) | instskip(SKIP_2) | instid1(VALU_DEP_4)
	v_lshrrev_b32_e32 v20, 16, v1
	v_mov_b32_e32 v1, 0
	v_mov_b32_e32 v2, 0
	;; [unrolled: 1-line block ×3, first 2 shown]
	s_delay_alu instid0(VALU_DEP_4) | instskip(SKIP_2) | instid1(VALU_DEP_1)
	v_lshl_add_u32 v5, ttmp9, 1, v20
	s_wait_kmcnt 0x0
	v_cmp_lt_u64_e64 s2, s[6:7], 2
	s_and_b32 vcc_lo, exec_lo, s2
	s_cbranch_vccnz .LBB0_8
; %bb.1:
	s_load_b64 s[2:3], s[0:1], 0x10
	v_mov_b32_e32 v1, 0
	v_mov_b32_e32 v2, 0
	s_add_nc_u64 s[12:13], s[10:11], 8
	s_mov_b64 s[14:15], 1
	s_wait_kmcnt 0x0
	s_add_nc_u64 s[16:17], s[2:3], 8
	s_mov_b32 s3, 0
.LBB0_2:                                ; =>This Inner Loop Header: Depth=1
	s_load_b64 s[18:19], s[16:17], 0x0
                                        ; implicit-def: $vgpr7_vgpr8
	s_mov_b32 s2, exec_lo
	s_wait_kmcnt 0x0
	v_or_b32_e32 v4, s19, v6
	s_delay_alu instid0(VALU_DEP_1)
	v_cmpx_ne_u64_e32 0, v[3:4]
	s_wait_alu 0xfffe
	s_xor_b32 s20, exec_lo, s2
	s_cbranch_execz .LBB0_4
; %bb.3:                                ;   in Loop: Header=BB0_2 Depth=1
	s_cvt_f32_u32 s2, s18
	s_cvt_f32_u32 s21, s19
	s_sub_nc_u64 s[24:25], 0, s[18:19]
	s_wait_alu 0xfffe
	s_delay_alu instid0(SALU_CYCLE_1) | instskip(SKIP_1) | instid1(SALU_CYCLE_2)
	s_fmamk_f32 s2, s21, 0x4f800000, s2
	s_wait_alu 0xfffe
	v_s_rcp_f32 s2, s2
	s_delay_alu instid0(TRANS32_DEP_1) | instskip(SKIP_1) | instid1(SALU_CYCLE_2)
	s_mul_f32 s2, s2, 0x5f7ffffc
	s_wait_alu 0xfffe
	s_mul_f32 s21, s2, 0x2f800000
	s_wait_alu 0xfffe
	s_delay_alu instid0(SALU_CYCLE_2) | instskip(SKIP_1) | instid1(SALU_CYCLE_2)
	s_trunc_f32 s21, s21
	s_wait_alu 0xfffe
	s_fmamk_f32 s2, s21, 0xcf800000, s2
	s_cvt_u32_f32 s23, s21
	s_wait_alu 0xfffe
	s_delay_alu instid0(SALU_CYCLE_1) | instskip(SKIP_1) | instid1(SALU_CYCLE_2)
	s_cvt_u32_f32 s22, s2
	s_wait_alu 0xfffe
	s_mul_u64 s[26:27], s[24:25], s[22:23]
	s_wait_alu 0xfffe
	s_mul_hi_u32 s29, s22, s27
	s_mul_i32 s28, s22, s27
	s_mul_hi_u32 s2, s22, s26
	s_mul_i32 s30, s23, s26
	s_wait_alu 0xfffe
	s_add_nc_u64 s[28:29], s[2:3], s[28:29]
	s_mul_hi_u32 s21, s23, s26
	s_mul_hi_u32 s31, s23, s27
	s_add_co_u32 s2, s28, s30
	s_wait_alu 0xfffe
	s_add_co_ci_u32 s2, s29, s21
	s_mul_i32 s26, s23, s27
	s_add_co_ci_u32 s27, s31, 0
	s_wait_alu 0xfffe
	s_add_nc_u64 s[26:27], s[2:3], s[26:27]
	s_wait_alu 0xfffe
	v_add_co_u32 v4, s2, s22, s26
	s_delay_alu instid0(VALU_DEP_1) | instskip(SKIP_1) | instid1(VALU_DEP_1)
	s_cmp_lg_u32 s2, 0
	s_add_co_ci_u32 s23, s23, s27
	v_readfirstlane_b32 s22, v4
	s_wait_alu 0xfffe
	s_delay_alu instid0(VALU_DEP_1)
	s_mul_u64 s[24:25], s[24:25], s[22:23]
	s_wait_alu 0xfffe
	s_mul_hi_u32 s27, s22, s25
	s_mul_i32 s26, s22, s25
	s_mul_hi_u32 s2, s22, s24
	s_mul_i32 s28, s23, s24
	s_wait_alu 0xfffe
	s_add_nc_u64 s[26:27], s[2:3], s[26:27]
	s_mul_hi_u32 s21, s23, s24
	s_mul_hi_u32 s22, s23, s25
	s_wait_alu 0xfffe
	s_add_co_u32 s2, s26, s28
	s_add_co_ci_u32 s2, s27, s21
	s_mul_i32 s24, s23, s25
	s_add_co_ci_u32 s25, s22, 0
	s_wait_alu 0xfffe
	s_add_nc_u64 s[24:25], s[2:3], s[24:25]
	s_wait_alu 0xfffe
	v_add_co_u32 v4, s2, v4, s24
	s_delay_alu instid0(VALU_DEP_1) | instskip(SKIP_1) | instid1(VALU_DEP_1)
	s_cmp_lg_u32 s2, 0
	s_add_co_ci_u32 s2, s23, s25
	v_mul_hi_u32 v13, v5, v4
	s_wait_alu 0xfffe
	v_mad_co_u64_u32 v[7:8], null, v5, s2, 0
	v_mad_co_u64_u32 v[9:10], null, v6, v4, 0
	;; [unrolled: 1-line block ×3, first 2 shown]
	s_delay_alu instid0(VALU_DEP_3) | instskip(SKIP_1) | instid1(VALU_DEP_4)
	v_add_co_u32 v4, vcc_lo, v13, v7
	s_wait_alu 0xfffd
	v_add_co_ci_u32_e32 v7, vcc_lo, 0, v8, vcc_lo
	s_delay_alu instid0(VALU_DEP_2) | instskip(SKIP_1) | instid1(VALU_DEP_2)
	v_add_co_u32 v4, vcc_lo, v4, v9
	s_wait_alu 0xfffd
	v_add_co_ci_u32_e32 v4, vcc_lo, v7, v10, vcc_lo
	s_wait_alu 0xfffd
	v_add_co_ci_u32_e32 v7, vcc_lo, 0, v12, vcc_lo
	s_delay_alu instid0(VALU_DEP_2) | instskip(SKIP_1) | instid1(VALU_DEP_2)
	v_add_co_u32 v4, vcc_lo, v4, v11
	s_wait_alu 0xfffd
	v_add_co_ci_u32_e32 v9, vcc_lo, 0, v7, vcc_lo
	s_delay_alu instid0(VALU_DEP_2) | instskip(SKIP_1) | instid1(VALU_DEP_3)
	v_mul_lo_u32 v10, s19, v4
	v_mad_co_u64_u32 v[7:8], null, s18, v4, 0
	v_mul_lo_u32 v11, s18, v9
	s_delay_alu instid0(VALU_DEP_2) | instskip(NEXT) | instid1(VALU_DEP_2)
	v_sub_co_u32 v7, vcc_lo, v5, v7
	v_add3_u32 v8, v8, v11, v10
	s_delay_alu instid0(VALU_DEP_1) | instskip(SKIP_1) | instid1(VALU_DEP_1)
	v_sub_nc_u32_e32 v10, v6, v8
	s_wait_alu 0xfffd
	v_subrev_co_ci_u32_e64 v10, s2, s19, v10, vcc_lo
	v_add_co_u32 v11, s2, v4, 2
	s_wait_alu 0xf1ff
	v_add_co_ci_u32_e64 v12, s2, 0, v9, s2
	v_sub_co_u32 v13, s2, v7, s18
	v_sub_co_ci_u32_e32 v8, vcc_lo, v6, v8, vcc_lo
	s_wait_alu 0xf1ff
	v_subrev_co_ci_u32_e64 v10, s2, 0, v10, s2
	s_delay_alu instid0(VALU_DEP_3) | instskip(NEXT) | instid1(VALU_DEP_3)
	v_cmp_le_u32_e32 vcc_lo, s18, v13
	v_cmp_eq_u32_e64 s2, s19, v8
	s_wait_alu 0xfffd
	v_cndmask_b32_e64 v13, 0, -1, vcc_lo
	v_cmp_le_u32_e32 vcc_lo, s19, v10
	s_wait_alu 0xfffd
	v_cndmask_b32_e64 v14, 0, -1, vcc_lo
	v_cmp_le_u32_e32 vcc_lo, s18, v7
	;; [unrolled: 3-line block ×3, first 2 shown]
	s_wait_alu 0xfffd
	v_cndmask_b32_e64 v15, 0, -1, vcc_lo
	v_cmp_eq_u32_e32 vcc_lo, s19, v10
	s_wait_alu 0xf1ff
	s_delay_alu instid0(VALU_DEP_2)
	v_cndmask_b32_e64 v7, v15, v7, s2
	s_wait_alu 0xfffd
	v_cndmask_b32_e32 v10, v14, v13, vcc_lo
	v_add_co_u32 v13, vcc_lo, v4, 1
	s_wait_alu 0xfffd
	v_add_co_ci_u32_e32 v14, vcc_lo, 0, v9, vcc_lo
	s_delay_alu instid0(VALU_DEP_3) | instskip(SKIP_2) | instid1(VALU_DEP_3)
	v_cmp_ne_u32_e32 vcc_lo, 0, v10
	s_wait_alu 0xfffd
	v_cndmask_b32_e32 v10, v13, v11, vcc_lo
	v_cndmask_b32_e32 v8, v14, v12, vcc_lo
	v_cmp_ne_u32_e32 vcc_lo, 0, v7
	s_wait_alu 0xfffd
	s_delay_alu instid0(VALU_DEP_2)
	v_dual_cndmask_b32 v7, v4, v10 :: v_dual_cndmask_b32 v8, v9, v8
.LBB0_4:                                ;   in Loop: Header=BB0_2 Depth=1
	s_wait_alu 0xfffe
	s_and_not1_saveexec_b32 s2, s20
	s_cbranch_execz .LBB0_6
; %bb.5:                                ;   in Loop: Header=BB0_2 Depth=1
	v_cvt_f32_u32_e32 v4, s18
	s_sub_co_i32 s20, 0, s18
	s_delay_alu instid0(VALU_DEP_1) | instskip(NEXT) | instid1(TRANS32_DEP_1)
	v_rcp_iflag_f32_e32 v4, v4
	v_mul_f32_e32 v4, 0x4f7ffffe, v4
	s_delay_alu instid0(VALU_DEP_1) | instskip(SKIP_1) | instid1(VALU_DEP_1)
	v_cvt_u32_f32_e32 v4, v4
	s_wait_alu 0xfffe
	v_mul_lo_u32 v7, s20, v4
	s_delay_alu instid0(VALU_DEP_1) | instskip(NEXT) | instid1(VALU_DEP_1)
	v_mul_hi_u32 v7, v4, v7
	v_add_nc_u32_e32 v4, v4, v7
	s_delay_alu instid0(VALU_DEP_1) | instskip(NEXT) | instid1(VALU_DEP_1)
	v_mul_hi_u32 v4, v5, v4
	v_mul_lo_u32 v7, v4, s18
	v_add_nc_u32_e32 v8, 1, v4
	s_delay_alu instid0(VALU_DEP_2) | instskip(NEXT) | instid1(VALU_DEP_1)
	v_sub_nc_u32_e32 v7, v5, v7
	v_subrev_nc_u32_e32 v9, s18, v7
	v_cmp_le_u32_e32 vcc_lo, s18, v7
	s_wait_alu 0xfffd
	s_delay_alu instid0(VALU_DEP_2) | instskip(NEXT) | instid1(VALU_DEP_1)
	v_dual_cndmask_b32 v7, v7, v9 :: v_dual_cndmask_b32 v4, v4, v8
	v_cmp_le_u32_e32 vcc_lo, s18, v7
	s_delay_alu instid0(VALU_DEP_2) | instskip(SKIP_1) | instid1(VALU_DEP_1)
	v_add_nc_u32_e32 v8, 1, v4
	s_wait_alu 0xfffd
	v_dual_cndmask_b32 v7, v4, v8 :: v_dual_mov_b32 v8, v3
.LBB0_6:                                ;   in Loop: Header=BB0_2 Depth=1
	s_wait_alu 0xfffe
	s_or_b32 exec_lo, exec_lo, s2
	s_load_b64 s[20:21], s[12:13], 0x0
	s_delay_alu instid0(VALU_DEP_1)
	v_mul_lo_u32 v4, v8, s18
	v_mul_lo_u32 v11, v7, s19
	v_mad_co_u64_u32 v[9:10], null, v7, s18, 0
	s_add_nc_u64 s[14:15], s[14:15], 1
	s_add_nc_u64 s[12:13], s[12:13], 8
	s_wait_alu 0xfffe
	v_cmp_ge_u64_e64 s2, s[14:15], s[6:7]
	s_add_nc_u64 s[16:17], s[16:17], 8
	s_delay_alu instid0(VALU_DEP_2) | instskip(NEXT) | instid1(VALU_DEP_3)
	v_add3_u32 v4, v10, v11, v4
	v_sub_co_u32 v5, vcc_lo, v5, v9
	s_wait_alu 0xfffd
	s_delay_alu instid0(VALU_DEP_2) | instskip(SKIP_3) | instid1(VALU_DEP_2)
	v_sub_co_ci_u32_e32 v4, vcc_lo, v6, v4, vcc_lo
	s_and_b32 vcc_lo, exec_lo, s2
	s_wait_kmcnt 0x0
	v_mul_lo_u32 v6, s21, v5
	v_mul_lo_u32 v4, s20, v4
	v_mad_co_u64_u32 v[1:2], null, s20, v5, v[1:2]
	s_delay_alu instid0(VALU_DEP_1)
	v_add3_u32 v2, v6, v2, v4
	s_wait_alu 0xfffe
	s_cbranch_vccnz .LBB0_9
; %bb.7:                                ;   in Loop: Header=BB0_2 Depth=1
	v_dual_mov_b32 v5, v7 :: v_dual_mov_b32 v6, v8
	s_branch .LBB0_2
.LBB0_8:
	v_dual_mov_b32 v8, v6 :: v_dual_mov_b32 v7, v5
.LBB0_9:
	s_lshl_b64 s[2:3], s[6:7], 3
	v_mul_hi_u32 v5, 0x295fad5, v0
	s_wait_alu 0xfffe
	s_add_nc_u64 s[2:3], s[10:11], s[2:3]
                                        ; implicit-def: $vgpr42_vgpr43
                                        ; implicit-def: $vgpr38_vgpr39
                                        ; implicit-def: $vgpr26_vgpr27
                                        ; implicit-def: $vgpr14_vgpr15
                                        ; implicit-def: $vgpr10_vgpr11
                                        ; implicit-def: $vgpr18_vgpr19
                                        ; implicit-def: $vgpr34_vgpr35
                                        ; implicit-def: $vgpr30_vgpr31
	s_load_b64 s[2:3], s[2:3], 0x0
	s_load_b64 s[0:1], s[0:1], 0x20
	s_wait_kmcnt 0x0
	v_mul_lo_u32 v3, s2, v8
	v_mul_lo_u32 v4, s3, v7
	v_mad_co_u64_u32 v[1:2], null, s2, v7, v[1:2]
	v_cmp_gt_u64_e32 vcc_lo, s[0:1], v[7:8]
	s_delay_alu instid0(VALU_DEP_2) | instskip(SKIP_1) | instid1(VALU_DEP_2)
	v_add3_u32 v2, v4, v2, v3
	v_mul_u32_u24_e32 v3, 0x63, v5
	v_lshlrev_b64_e32 v[44:45], 4, v[1:2]
	s_delay_alu instid0(VALU_DEP_2)
	v_sub_nc_u32_e32 v46, v0, v3
                                        ; implicit-def: $vgpr2_vgpr3
	s_and_saveexec_b32 s1, vcc_lo
; %bb.10:
	v_mov_b32_e32 v47, 0
	s_delay_alu instid0(VALU_DEP_3) | instskip(SKIP_2) | instid1(VALU_DEP_3)
	v_add_co_u32 v2, s0, s8, v44
	s_wait_alu 0xf1ff
	v_add_co_ci_u32_e64 v3, s0, s9, v45, s0
	v_lshlrev_b64_e32 v[0:1], 4, v[46:47]
	s_delay_alu instid0(VALU_DEP_1) | instskip(SKIP_1) | instid1(VALU_DEP_2)
	v_add_co_u32 v4, s0, v2, v0
	s_wait_alu 0xf1ff
	v_add_co_ci_u32_e64 v5, s0, v3, v1, s0
	s_clause 0x8
	global_load_b128 v[0:3], v[4:5], off
	global_load_b128 v[28:31], v[4:5], off offset:1584
	global_load_b128 v[32:35], v[4:5], off offset:3168
	;; [unrolled: 1-line block ×8, first 2 shown]
; %bb.11:
	s_wait_alu 0xfffe
	s_or_b32 exec_lo, exec_lo, s1
	s_wait_loadcnt 0x0
	v_add_f64_e64 v[4:5], v[30:31], -v[42:43]
	v_add_f64_e64 v[6:7], v[10:11], -v[14:15]
	v_add_f64_e32 v[21:22], v[36:37], v[32:33]
	v_add_f64_e32 v[47:48], v[12:13], v[8:9]
	;; [unrolled: 1-line block ×3, first 2 shown]
	s_mov_b32 s16, 0x523c161c
	s_mov_b32 s2, 0x8c811c17
	;; [unrolled: 1-line block ×8, first 2 shown]
	v_add_f64_e64 v[51:52], v[34:35], -v[38:39]
	s_mov_b32 s18, 0x7e0b738b
	s_mov_b32 s19, 0x3fc63a1a
	v_add_f64_e32 v[65:66], v[24:25], v[16:17]
	v_add_f64_e64 v[67:68], v[18:19], -v[26:27]
	s_mov_b32 s14, 0xe8584cab
	s_mov_b32 s15, 0x3febb67a
	;; [unrolled: 1-line block ×3, first 2 shown]
	s_wait_alu 0xfffe
	s_mov_b32 s12, s14
	s_mov_b32 s22, 0x748a0bf8
	;; [unrolled: 1-line block ×5, first 2 shown]
	v_mul_f64_e32 v[53:54], s[16:17], v[4:5]
	v_mul_f64_e32 v[55:56], s[10:11], v[6:7]
	;; [unrolled: 1-line block ×3, first 2 shown]
	v_fma_f64 v[59:60], v[21:22], s[6:7], v[0:1]
	v_fma_f64 v[61:62], v[47:48], s[6:7], v[0:1]
	v_fma_f64 v[63:64], v[49:50], s[6:7], v[0:1]
	v_add_f64_e32 v[69:70], v[21:22], v[49:50]
	v_add_f64_e32 v[71:72], v[6:7], v[4:5]
	;; [unrolled: 1-line block ×3, first 2 shown]
	v_fma_f64 v[53:54], v[51:52], s[2:3], v[53:54]
	v_fma_f64 v[55:56], v[4:5], s[2:3], v[55:56]
	v_fma_f64 v[57:58], v[51:52], s[10:11], -v[57:58]
	v_fma_f64 v[59:60], v[47:48], s[18:19], v[59:60]
	v_fma_f64 v[61:62], v[49:50], s[18:19], v[61:62]
	;; [unrolled: 1-line block ×3, first 2 shown]
	v_add_f64_e32 v[75:76], v[47:48], v[69:70]
	v_add_f64_e32 v[69:70], v[65:66], v[69:70]
	v_fma_f64 v[53:54], v[67:68], s[14:15], v[53:54]
	v_fma_f64 v[55:56], v[67:68], s[12:13], v[55:56]
	;; [unrolled: 1-line block ×3, first 2 shown]
	v_fma_f64 v[59:60], v[65:66], -0.5, v[59:60]
	v_fma_f64 v[61:62], v[65:66], -0.5, v[61:62]
	;; [unrolled: 1-line block ×3, first 2 shown]
	v_add_f64_e64 v[65:66], v[71:72], -v[51:52]
	v_fma_f64 v[67:68], v[75:76], -0.5, v[73:74]
	v_add_f64_e32 v[69:70], v[8:9], v[69:70]
	s_wait_alu 0xfffe
	v_fma_f64 v[6:7], v[6:7], s[22:23], v[53:54]
	v_fma_f64 v[53:54], v[51:52], s[22:23], v[55:56]
	;; [unrolled: 1-line block ×6, first 2 shown]
	v_mul_f64_e32 v[59:60], s[14:15], v[65:66]
	v_fma_f64 v[51:52], v[65:66], s[14:15], v[67:68]
	v_add_f64_e32 v[61:62], v[12:13], v[69:70]
	v_lshlrev_b32_e32 v66, 3, v46
	v_add_f64_e32 v[57:58], v[71:72], v[4:5]
	v_add_f64_e32 v[49:50], v[53:54], v[21:22]
	;; [unrolled: 1-line block ×3, first 2 shown]
                                        ; implicit-def: $vgpr22_vgpr23
	v_fma_f64 v[4:5], v[59:60], -2.0, v[51:52]
	v_add_f64_e32 v[47:48], v[0:1], v[61:62]
	v_and_b32_e32 v0, 1, v20
	v_mad_u32_u24 v59, 0x48, v46, 0
	v_lshlrev_b32_e32 v61, 6, v46
	s_delay_alu instid0(VALU_DEP_3) | instskip(SKIP_1) | instid1(VALU_DEP_1)
	v_cmp_eq_u32_e64 s0, 1, v0
	s_wait_alu 0xf1ff
	v_cndmask_b32_e64 v0, 0, 0x37b, s0
	v_cmp_gt_u32_e64 s0, 0x51, v46
	s_delay_alu instid0(VALU_DEP_2)
	v_lshl_add_u32 v60, v0, 3, v59
	v_lshlrev_b32_e32 v65, 3, v0
	v_fma_f64 v[63:64], v[71:72], -2.0, v[57:58]
	v_fma_f64 v[53:54], v[53:54], -2.0, v[49:50]
	v_fma_f64 v[6:7], v[6:7], -2.0, v[55:56]
	ds_store_2addr_b64 v60, v[47:48], v[55:56] offset1:1
	ds_store_2addr_b64 v60, v[49:50], v[51:52] offset0:2 offset1:3
	ds_store_2addr_b64 v60, v[57:58], v[63:64] offset0:4 offset1:5
	;; [unrolled: 1-line block ×3, first 2 shown]
	ds_store_b64 v60, v[6:7] offset:64
	global_wb scope:SCOPE_SE
	s_wait_dscnt 0x0
	s_barrier_signal -1
	s_barrier_wait -1
	global_inv scope:SCOPE_SE
	s_and_saveexec_b32 s1, s0
	s_cbranch_execz .LBB0_13
; %bb.12:
	v_sub_nc_u32_e32 v0, v59, v61
	s_delay_alu instid0(VALU_DEP_1) | instskip(NEXT) | instid1(VALU_DEP_1)
	v_add_nc_u32_e32 v0, v0, v65
	v_add_nc_u32_e32 v1, 0x1000, v0
	;; [unrolled: 1-line block ×4, first 2 shown]
	ds_load_2addr_b64 v[55:58], v0 offset0:81 offset1:162
	ds_load_2addr_b64 v[4:7], v1 offset0:55 offset1:136
	;; [unrolled: 1-line block ×4, first 2 shown]
	v_add3_u32 v1, 0, v65, v66
	s_wait_dscnt 0x2
	v_dual_mov_b32 v49, v57 :: v_dual_mov_b32 v54, v5
	v_dual_mov_b32 v53, v4 :: v_dual_add_nc_u32 v0, 0x1400, v0
	s_wait_dscnt 0x1
	v_dual_mov_b32 v4, v69 :: v_dual_mov_b32 v63, v67
	v_mov_b32_e32 v5, v70
	ds_load_b64 v[47:48], v1
	ds_load_2addr_b64 v[20:23], v0 offset0:89 offset1:170
	v_mov_b32_e32 v50, v58
	s_wait_dscnt 0x2
	v_dual_mov_b32 v64, v68 :: v_dual_mov_b32 v57, v73
	v_dual_mov_b32 v58, v74 :: v_dual_mov_b32 v51, v71
	v_mov_b32_e32 v52, v72
.LBB0_13:
	s_wait_alu 0xfffe
	s_or_b32 exec_lo, exec_lo, s1
	v_add_f64_e64 v[0:1], v[28:29], -v[40:41]
	v_add_f64_e64 v[8:9], v[8:9], -v[12:13]
	v_add_f64_e32 v[12:13], v[38:39], v[34:35]
	v_add_f64_e32 v[28:29], v[14:15], v[10:11]
	;; [unrolled: 1-line block ×3, first 2 shown]
	v_add_f64_e64 v[32:33], v[32:33], -v[36:37]
	v_add_f64_e32 v[18:19], v[26:27], v[18:19]
	v_add_f64_e64 v[16:17], v[16:17], -v[24:25]
	global_wb scope:SCOPE_SE
	s_wait_dscnt 0x0
	s_barrier_signal -1
	s_barrier_wait -1
	global_inv scope:SCOPE_SE
	v_mul_f64_e32 v[34:35], s[16:17], v[0:1]
	v_mul_f64_e32 v[36:37], s[10:11], v[8:9]
	v_mul_f64_e32 v[38:39], s[2:3], v[8:9]
	v_fma_f64 v[40:41], v[12:13], s[6:7], v[2:3]
	v_fma_f64 v[42:43], v[28:29], s[6:7], v[2:3]
	v_fma_f64 v[67:68], v[30:31], s[6:7], v[2:3]
	v_add_f64_e32 v[26:27], v[12:13], v[30:31]
	v_add_f64_e32 v[69:70], v[18:19], v[2:3]
	v_fma_f64 v[24:25], v[32:33], s[2:3], v[34:35]
	v_fma_f64 v[34:35], v[0:1], s[2:3], v[36:37]
	v_fma_f64 v[36:37], v[32:33], s[10:11], -v[38:39]
	v_fma_f64 v[38:39], v[28:29], s[18:19], v[40:41]
	v_fma_f64 v[40:41], v[30:31], s[18:19], v[42:43]
	;; [unrolled: 1-line block ×3, first 2 shown]
	v_add_f64_e32 v[67:68], v[8:9], v[0:1]
	v_add_f64_e32 v[71:72], v[28:29], v[26:27]
	v_add_f64_e32 v[26:27], v[18:19], v[26:27]
	v_fma_f64 v[24:25], v[16:17], s[14:15], v[24:25]
	v_fma_f64 v[34:35], v[16:17], s[12:13], v[34:35]
	v_fma_f64 v[16:17], v[16:17], s[14:15], v[36:37]
	v_fma_f64 v[36:37], v[18:19], -0.5, v[38:39]
	v_fma_f64 v[38:39], v[18:19], -0.5, v[40:41]
	v_fma_f64 v[18:19], v[18:19], -0.5, v[42:43]
	v_add_f64_e64 v[40:41], v[67:68], -v[32:33]
	v_fma_f64 v[42:43], v[71:72], -0.5, v[69:70]
	v_add_f64_e32 v[10:11], v[10:11], v[26:27]
	v_fma_f64 v[8:9], v[8:9], s[22:23], v[24:25]
	v_fma_f64 v[32:33], v[32:33], s[22:23], v[34:35]
	;; [unrolled: 1-line block ×6, first 2 shown]
	v_mul_f64_e32 v[30:31], s[14:15], v[40:41]
	v_fma_f64 v[24:25], v[40:41], s[12:13], v[42:43]
	v_add_f64_e32 v[10:11], v[14:15], v[10:11]
	v_add_f64_e64 v[14:15], v[0:1], -v[26:27]
	v_add_f64_e64 v[18:19], v[12:13], -v[32:33]
	;; [unrolled: 1-line block ×3, first 2 shown]
	v_fma_f64 v[0:1], v[30:31], 2.0, v[24:25]
	v_add_f64_e32 v[16:17], v[2:3], v[10:11]
                                        ; implicit-def: $vgpr10_vgpr11
	v_fma_f64 v[26:27], v[26:27], 2.0, v[14:15]
	v_fma_f64 v[12:13], v[32:33], 2.0, v[18:19]
	v_fma_f64 v[2:3], v[8:9], 2.0, v[28:29]
	ds_store_2addr_b64 v60, v[16:17], v[28:29] offset1:1
	ds_store_2addr_b64 v60, v[18:19], v[24:25] offset0:2 offset1:3
	ds_store_2addr_b64 v60, v[14:15], v[26:27] offset0:4 offset1:5
	;; [unrolled: 1-line block ×3, first 2 shown]
	ds_store_b64 v60, v[2:3] offset:64
	global_wb scope:SCOPE_SE
	s_wait_dscnt 0x0
	s_barrier_signal -1
	s_barrier_wait -1
	global_inv scope:SCOPE_SE
	s_and_saveexec_b32 s1, s0
	s_cbranch_execz .LBB0_15
; %bb.14:
	v_sub_nc_u32_e32 v0, v59, v61
	s_delay_alu instid0(VALU_DEP_1) | instskip(NEXT) | instid1(VALU_DEP_1)
	v_add_nc_u32_e32 v8, v0, v65
	v_add_nc_u32_e32 v0, 0x1000, v8
	;; [unrolled: 1-line block ×4, first 2 shown]
	ds_load_2addr_b64 v[28:31], v8 offset0:81 offset1:162
	ds_load_2addr_b64 v[0:3], v0 offset0:55 offset1:136
	;; [unrolled: 1-line block ×4, first 2 shown]
	v_add3_u32 v9, 0, v65, v66
	s_wait_dscnt 0x2
	v_dual_mov_b32 v18, v30 :: v_dual_mov_b32 v13, v1
	v_dual_mov_b32 v19, v31 :: v_dual_add_nc_u32 v8, 0x1400, v8
	v_mov_b32_e32 v12, v0
	s_wait_dscnt 0x1
	v_dual_mov_b32 v0, v26 :: v_dual_mov_b32 v1, v27
	v_mov_b32_e32 v27, v25
	ds_load_b64 v[16:17], v9
	ds_load_2addr_b64 v[8:11], v8 offset0:89 offset1:170
	v_mov_b32_e32 v26, v24
	s_wait_dscnt 0x2
	v_mov_b32_e32 v14, v34
	v_dual_mov_b32 v24, v32 :: v_dual_mov_b32 v25, v33
	v_mov_b32_e32 v15, v35
.LBB0_15:
	s_wait_alu 0xfffe
	s_or_b32 exec_lo, exec_lo, s1
	v_and_b32_e32 v30, 0xff, v46
	s_delay_alu instid0(VALU_DEP_1) | instskip(NEXT) | instid1(VALU_DEP_1)
	v_mul_lo_u16 v30, v30, 57
	v_lshrrev_b16 v113, 9, v30
	s_delay_alu instid0(VALU_DEP_1) | instskip(NEXT) | instid1(VALU_DEP_1)
	v_mul_lo_u16 v30, v113, 9
	v_sub_nc_u16 v30, v46, v30
	s_delay_alu instid0(VALU_DEP_1) | instskip(NEXT) | instid1(VALU_DEP_1)
	v_and_b32_e32 v114, 0xff, v30
	v_mul_u32_u24_e32 v30, 10, v114
	s_delay_alu instid0(VALU_DEP_1)
	v_lshlrev_b32_e32 v42, 4, v30
	s_clause 0x9
	global_load_b128 v[30:33], v42, s[4:5]
	global_load_b128 v[34:37], v42, s[4:5] offset:16
	global_load_b128 v[38:41], v42, s[4:5] offset:32
	;; [unrolled: 1-line block ×9, first 2 shown]
	global_wb scope:SCOPE_SE
	s_wait_loadcnt_dscnt 0x0
	s_barrier_signal -1
	s_barrier_wait -1
	global_inv scope:SCOPE_SE
	v_mul_f64_e32 v[42:43], v[28:29], v[32:33]
	v_mul_f64_e32 v[32:33], v[55:56], v[32:33]
	;; [unrolled: 1-line block ×20, first 2 shown]
	v_fma_f64 v[61:62], v[55:56], v[30:31], -v[42:43]
	v_fma_f64 v[59:60], v[28:29], v[30:31], v[32:33]
	v_fma_f64 v[55:56], v[49:50], v[34:35], -v[95:96]
	v_fma_f64 v[49:50], v[18:19], v[34:35], v[36:37]
	;; [unrolled: 2-line block ×10, first 2 shown]
	v_and_b32_e32 v63, 0xffff, v113
	v_lshlrev_b32_e32 v64, 3, v114
	s_and_saveexec_b32 s1, s0
	s_cbranch_execz .LBB0_17
; %bb.16:
	v_add_f64_e32 v[0:1], v[47:48], v[61:62]
	v_add_f64_e64 v[2:3], v[36:37], -v[30:31]
	v_add_f64_e64 v[4:5], v[59:60], -v[18:19]
	;; [unrolled: 1-line block ×4, first 2 shown]
	s_mov_b32 s18, 0xbb3a28a1
	s_mov_b32 s22, 0xfd768dbf
	s_mov_b32 s17, 0x3fed1bb4
	s_mov_b32 s16, 0x8eee2c13
	s_mov_b32 s19, 0xbfe82f19
	s_mov_b32 s23, 0xbfd207e7
	s_mov_b32 s14, 0x43842ef
	v_add_f64_e64 v[10:11], v[49:50], -v[20:21]
	s_mov_b32 s20, 0xf8bb580b
	s_mov_b32 s15, 0xbfefac9e
	s_mov_b32 s21, 0x3fe14ced
	s_mov_b32 s25, 0xbfe14ced
	v_add_f64_e32 v[12:13], v[61:62], v[22:23]
	s_wait_alu 0xfffe
	s_mov_b32 s24, s20
	s_mov_b32 s27, 0x3fefac9e
	;; [unrolled: 1-line block ×13, first 2 shown]
	v_add_f64_e32 v[79:80], v[55:56], v[57:58]
	v_add_f64_e32 v[0:1], v[0:1], v[55:56]
	v_mul_f64_e32 v[14:15], s[16:17], v[2:3]
	v_mul_f64_e32 v[67:68], s[22:23], v[4:5]
	;; [unrolled: 1-line block ×5, first 2 shown]
	s_mov_b32 s17, 0xbfed1bb4
	v_mul_f64_e32 v[75:76], s[14:15], v[4:5]
	s_wait_alu 0xfffe
	v_mul_f64_e32 v[77:78], s[24:25], v[4:5]
	v_mul_f64_e32 v[4:5], s[16:17], v[4:5]
	;; [unrolled: 1-line block ×9, first 2 shown]
	s_mov_b32 s16, 0x8764f0ba
	s_mov_b32 s17, 0x3feaeb8c
	v_mul_f64_e32 v[103:104], s[28:29], v[6:7]
	v_mul_f64_e32 v[6:7], s[14:15], v[6:7]
	;; [unrolled: 1-line block ×4, first 2 shown]
	v_add_f64_e32 v[0:1], v[0:1], v[51:52]
	v_fma_f64 v[89:90], v[12:13], s[12:13], v[67:68]
	v_fma_f64 v[67:68], v[12:13], s[12:13], -v[67:68]
	v_fma_f64 v[91:92], v[12:13], s[2:3], v[71:72]
	v_fma_f64 v[71:72], v[12:13], s[2:3], -v[71:72]
	;; [unrolled: 2-line block ×3, first 2 shown]
	s_wait_alu 0xfffe
	v_fma_f64 v[95:96], v[12:13], s[16:17], -v[77:78]
	v_fma_f64 v[97:98], v[12:13], s[6:7], -v[4:5]
	v_fma_f64 v[4:5], v[12:13], s[6:7], v[4:5]
	v_fma_f64 v[12:13], v[12:13], s[16:17], v[77:78]
	v_add_f64_e32 v[77:78], v[51:52], v[53:54]
	v_fma_f64 v[105:106], v[79:80], s[16:17], v[81:82]
	v_fma_f64 v[81:82], v[79:80], s[16:17], -v[81:82]
	v_fma_f64 v[107:108], v[79:80], s[10:11], v[83:84]
	v_fma_f64 v[83:84], v[79:80], s[10:11], -v[83:84]
	;; [unrolled: 2-line block ×5, first 2 shown]
	v_add_f64_e32 v[0:1], v[0:1], v[38:39]
	v_add_f64_e32 v[79:80], v[47:48], v[89:90]
	;; [unrolled: 1-line block ×12, first 2 shown]
	v_mul_f64_e32 v[97:98], s[22:23], v[2:3]
	v_mul_f64_e32 v[2:3], s[18:19], v[2:3]
	v_fma_f64 v[119:120], v[77:78], s[2:3], v[99:100]
	v_fma_f64 v[99:100], v[77:78], s[2:3], -v[99:100]
	v_fma_f64 v[121:122], v[77:78], s[16:17], v[101:102]
	v_fma_f64 v[101:102], v[77:78], s[16:17], -v[101:102]
	;; [unrolled: 2-line block ×5, first 2 shown]
	v_add_f64_e32 v[0:1], v[0:1], v[32:33]
	v_add_f64_e32 v[77:78], v[105:106], v[79:80]
	;; [unrolled: 1-line block ×5, first 2 shown]
	v_mul_f64_e32 v[89:90], s[18:19], v[8:9]
	v_add_f64_e32 v[81:82], v[109:110], v[91:92]
	v_add_f64_e32 v[75:76], v[85:86], v[75:76]
	;; [unrolled: 1-line block ×7, first 2 shown]
	v_mul_f64_e32 v[87:88], s[14:15], v[8:9]
	v_fma_f64 v[93:94], v[47:48], s[6:7], v[14:15]
	v_fma_f64 v[14:15], v[47:48], s[6:7], -v[14:15]
	v_fma_f64 v[95:96], v[47:48], s[12:13], v[97:98]
	v_fma_f64 v[97:98], v[47:48], s[12:13], -v[97:98]
	;; [unrolled: 2-line block ×5, first 2 shown]
	v_mul_f64_e32 v[91:92], s[20:21], v[8:9]
	v_mul_f64_e32 v[8:9], s[22:23], v[8:9]
	v_add_f64_e32 v[0:1], v[0:1], v[34:35]
	v_add_f64_e32 v[47:48], v[119:120], v[77:78]
	;; [unrolled: 1-line block ×11, first 2 shown]
	v_fma_f64 v[83:84], v[85:86], s[6:7], v[73:74]
	v_fma_f64 v[75:76], v[85:86], s[10:11], v[87:88]
	v_fma_f64 v[81:82], v[85:86], s[10:11], -v[87:88]
	v_fma_f64 v[73:74], v[85:86], s[6:7], -v[73:74]
	v_fma_f64 v[87:88], v[85:86], s[2:3], v[89:90]
	v_fma_f64 v[89:90], v[85:86], s[2:3], -v[89:90]
	v_fma_f64 v[99:100], v[85:86], s[16:17], v[91:92]
	v_fma_f64 v[91:92], v[85:86], s[16:17], -v[91:92]
	v_fma_f64 v[101:102], v[85:86], s[12:13], v[8:9]
	v_fma_f64 v[8:9], v[85:86], s[12:13], -v[8:9]
	v_add_f64_e32 v[0:1], v[0:1], v[40:41]
	v_add_f64_e32 v[47:48], v[93:94], v[47:48]
	;; [unrolled: 1-line block ×22, first 2 shown]
	v_mad_u32_u24 v10, 0x318, v63, 0
	s_delay_alu instid0(VALU_DEP_1) | instskip(SKIP_1) | instid1(VALU_DEP_1)
	v_add3_u32 v10, v10, v64, v65
	v_add_f64_e32 v[0:1], v[0:1], v[57:58]
	v_add_f64_e32 v[0:1], v[0:1], v[22:23]
	ds_store_2addr_b64 v10, v[67:68], v[14:15] offset0:36 offset1:45
	ds_store_2addr_b64 v10, v[12:13], v[47:48] offset0:54 offset1:63
	;; [unrolled: 1-line block ×4, first 2 shown]
	ds_store_2addr_b64 v10, v[0:1], v[2:3] offset1:9
	ds_store_b64 v10, v[8:9] offset:720
.LBB0_17:
	s_wait_alu 0xfffe
	s_or_b32 exec_lo, exec_lo, s1
	v_add3_u32 v67, 0, v66, v65
	v_add3_u32 v66, 0, v65, v66
	global_wb scope:SCOPE_SE
	s_wait_dscnt 0x0
	s_barrier_signal -1
	s_barrier_wait -1
	v_add_nc_u32_e32 v68, 0x800, v67
	v_add_nc_u32_e32 v69, 0xc00, v67
	;; [unrolled: 1-line block ×3, first 2 shown]
	global_inv scope:SCOPE_SE
	ds_load_b64 v[47:48], v66
	ds_load_2addr_b64 v[8:11], v68 offset0:41 offset1:140
	ds_load_2addr_b64 v[4:7], v69 offset0:111 offset1:210
	;; [unrolled: 1-line block ×4, first 2 shown]
	global_wb scope:SCOPE_SE
	s_wait_dscnt 0x0
	s_barrier_signal -1
	s_barrier_wait -1
	global_inv scope:SCOPE_SE
	s_and_saveexec_b32 s28, s0
	s_cbranch_execz .LBB0_19
; %bb.18:
	v_add_f64_e32 v[71:72], v[16:17], v[59:60]
	v_add_f64_e64 v[22:23], v[61:62], -v[22:23]
	s_mov_b32 s22, 0xf8bb580b
	s_mov_b32 s12, 0x43842ef
	s_mov_b32 s23, 0xbfe14ced
	s_mov_b32 s11, 0xbfed1bb4
	s_mov_b32 s10, 0x8eee2c13
	s_mov_b32 s13, 0xbfefac9e
	s_mov_b32 s14, 0xbb3a28a1
	s_mov_b32 s18, 0xfd768dbf
	s_mov_b32 s15, 0xbfe82f19
	s_mov_b32 s19, 0xbfd207e7
	v_add_f64_e32 v[59:60], v[59:60], v[18:19]
	v_add_f64_e64 v[55:56], v[55:56], -v[57:58]
	s_mov_b32 s6, 0x8764f0ba
	s_mov_b32 s0, 0xd9c712b6
	;; [unrolled: 1-line block ×10, first 2 shown]
	s_wait_alu 0xfffe
	s_mov_b32 s30, s18
	s_mov_b32 s26, s12
	;; [unrolled: 1-line block ×6, first 2 shown]
	v_add_f64_e64 v[51:52], v[51:52], -v[53:54]
	v_add_f64_e64 v[38:39], v[38:39], -v[40:41]
	;; [unrolled: 1-line block ×3, first 2 shown]
	v_add_f64_e32 v[71:72], v[71:72], v[49:50]
	v_mul_f64_e32 v[57:58], s[22:23], v[22:23]
	v_mul_f64_e32 v[73:74], s[12:13], v[22:23]
	;; [unrolled: 1-line block ×3, first 2 shown]
	v_add_f64_e32 v[49:50], v[49:50], v[20:21]
	v_mul_f64_e32 v[53:54], s[10:11], v[55:56]
	v_mul_f64_e32 v[77:78], s[14:15], v[55:56]
	;; [unrolled: 1-line block ×3, first 2 shown]
	s_wait_alu 0xfffe
	v_mul_f64_e32 v[81:82], s[26:27], v[55:56]
	v_mul_f64_e32 v[55:56], s[24:25], v[55:56]
	;; [unrolled: 1-line block ×7, first 2 shown]
	v_add_f64_e32 v[61:62], v[71:72], v[42:43]
	v_mul_f64_e32 v[71:72], s[10:11], v[22:23]
	v_mul_f64_e32 v[22:23], s[18:19], v[22:23]
	v_fma_f64 v[83:84], v[59:60], s[6:7], v[57:58]
	v_fma_f64 v[87:88], v[59:60], s[2:3], v[73:74]
	v_fma_f64 v[89:90], v[59:60], s[16:17], v[75:76]
	v_fma_f64 v[75:76], v[59:60], s[16:17], -v[75:76]
	v_fma_f64 v[73:74], v[59:60], s[2:3], -v[73:74]
	;; [unrolled: 1-line block ×3, first 2 shown]
	s_mov_b32 s11, 0x3fed1bb4
	v_add_f64_e32 v[42:43], v[42:43], v[24:25]
	v_fma_f64 v[97:98], v[49:50], s[0:1], v[53:54]
	v_fma_f64 v[53:54], v[49:50], s[0:1], -v[53:54]
	v_fma_f64 v[99:100], v[49:50], s[16:17], v[77:78]
	v_fma_f64 v[77:78], v[49:50], s[16:17], -v[77:78]
	;; [unrolled: 2-line block ×5, first 2 shown]
	v_add_f64_e32 v[61:62], v[61:62], v[36:37]
	v_fma_f64 v[85:86], v[59:60], s[0:1], v[71:72]
	v_fma_f64 v[71:72], v[59:60], s[0:1], -v[71:72]
	v_fma_f64 v[91:92], v[59:60], s[20:21], v[22:23]
	v_fma_f64 v[22:23], v[59:60], s[20:21], -v[22:23]
	v_mul_f64_e32 v[59:60], s[30:31], v[51:52]
	s_wait_alu 0xfffe
	v_mul_f64_e32 v[51:52], s[10:11], v[51:52]
	v_add_f64_e32 v[55:56], v[16:17], v[83:84]
	v_add_f64_e32 v[75:76], v[16:17], v[75:76]
	;; [unrolled: 1-line block ×4, first 2 shown]
	v_fma_f64 v[109:110], v[42:43], s[2:3], v[40:41]
	v_fma_f64 v[40:41], v[42:43], s[2:3], -v[40:41]
	v_fma_f64 v[113:114], v[42:43], s[6:7], v[93:94]
	v_fma_f64 v[93:94], v[42:43], s[6:7], -v[93:94]
	;; [unrolled: 2-line block ×3, first 2 shown]
	v_add_f64_e32 v[61:62], v[61:62], v[26:27]
	v_add_f64_e32 v[83:84], v[16:17], v[85:86]
	;; [unrolled: 1-line block ×8, first 2 shown]
	v_mul_f64_e32 v[57:58], s[26:27], v[38:39]
	v_mul_f64_e32 v[91:92], s[22:23], v[38:39]
	;; [unrolled: 1-line block ×3, first 2 shown]
	v_fma_f64 v[111:112], v[42:43], s[20:21], v[59:60]
	v_fma_f64 v[59:60], v[42:43], s[20:21], -v[59:60]
	v_fma_f64 v[117:118], v[42:43], s[0:1], v[51:52]
	v_fma_f64 v[42:43], v[42:43], s[0:1], -v[51:52]
	v_add_f64_e32 v[51:52], v[97:98], v[55:56]
	v_add_f64_e32 v[75:76], v[81:82], v[75:76]
	;; [unrolled: 1-line block ×3, first 2 shown]
	v_fma_f64 v[97:98], v[36:37], s[20:21], -v[107:108]
	v_add_f64_e32 v[61:62], v[61:62], v[28:29]
	v_add_f64_e32 v[55:56], v[99:100], v[83:84]
	;; [unrolled: 1-line block ×9, first 2 shown]
	v_mul_f64_e32 v[28:29], s[18:19], v[32:33]
	v_mul_f64_e32 v[53:54], s[24:25], v[32:33]
	;; [unrolled: 1-line block ×3, first 2 shown]
	v_fma_f64 v[79:80], v[36:37], s[16:17], v[34:35]
	v_fma_f64 v[34:35], v[36:37], s[16:17], -v[34:35]
	v_fma_f64 v[85:86], v[36:37], s[2:3], v[57:58]
	v_fma_f64 v[57:58], v[36:37], s[2:3], -v[57:58]
	;; [unrolled: 2-line block ×3, first 2 shown]
	v_fma_f64 v[91:92], v[36:37], s[20:21], v[107:108]
	v_fma_f64 v[99:100], v[36:37], s[0:1], v[38:39]
	v_fma_f64 v[36:37], v[36:37], s[0:1], -v[38:39]
	v_add_f64_e32 v[38:39], v[109:110], v[51:52]
	v_add_f64_e32 v[75:76], v[93:94], v[75:76]
	;; [unrolled: 1-line block ×3, first 2 shown]
	v_mul_f64_e32 v[61:62], s[14:15], v[32:33]
	v_mul_f64_e32 v[32:33], s[10:11], v[32:33]
	v_add_f64_e32 v[51:52], v[111:112], v[55:56]
	v_add_f64_e32 v[55:56], v[59:60], v[71:72]
	;; [unrolled: 1-line block ×8, first 2 shown]
	v_fma_f64 v[40:41], v[26:27], s[6:7], v[53:54]
	v_fma_f64 v[49:50], v[26:27], s[6:7], -v[53:54]
	v_fma_f64 v[81:82], v[26:27], s[2:3], v[73:74]
	v_fma_f64 v[73:74], v[26:27], s[2:3], -v[73:74]
	v_add_f64_e32 v[24:25], v[30:31], v[24:25]
	v_fma_f64 v[30:31], v[26:27], s[20:21], v[28:29]
	v_fma_f64 v[28:29], v[26:27], s[20:21], -v[28:29]
	v_fma_f64 v[53:54], v[26:27], s[16:17], v[61:62]
	v_fma_f64 v[61:62], v[26:27], s[16:17], -v[61:62]
	;; [unrolled: 2-line block ×3, first 2 shown]
	v_add_f64_e32 v[32:33], v[79:80], v[38:39]
	v_add_f64_e32 v[38:39], v[85:86], v[51:52]
	;; [unrolled: 1-line block ×22, first 2 shown]
	v_mad_u32_u24 v20, 0x318, v63, 0
	s_delay_alu instid0(VALU_DEP_1)
	v_add3_u32 v20, v20, v64, v65
	ds_store_2addr_b64 v20, v[30:31], v[34:35] offset0:18 offset1:27
	ds_store_2addr_b64 v20, v[38:39], v[40:41] offset0:36 offset1:45
	;; [unrolled: 1-line block ×4, first 2 shown]
	ds_store_2addr_b64 v20, v[18:19], v[24:25] offset1:9
	ds_store_b64 v20, v[16:17] offset:720
.LBB0_19:
	s_wait_alu 0xfffe
	s_or_b32 exec_lo, exec_lo, s28
	v_add_nc_u32_e32 v22, 0xc6, v46
	global_wb scope:SCOPE_SE
	s_wait_dscnt 0x0
	s_barrier_signal -1
	s_barrier_wait -1
	global_inv scope:SCOPE_SE
	v_and_b32_e32 v16, 0xffff, v22
	s_mov_b32 s3, 0xbfebb67a
	v_add_nc_u32_e32 v43, 0x400, v67
	s_delay_alu instid0(VALU_DEP_2) | instskip(NEXT) | instid1(VALU_DEP_1)
	v_mul_u32_u24_e32 v16, 0xa57f, v16
	v_lshrrev_b32_e32 v17, 22, v16
	v_lshlrev_b32_e32 v16, 1, v46
	s_delay_alu instid0(VALU_DEP_2) | instskip(SKIP_1) | instid1(VALU_DEP_2)
	v_mul_lo_u16 v18, 0x63, v17
	v_mov_b32_e32 v17, 0
	v_sub_nc_u16 v20, v22, v18
	s_delay_alu instid0(VALU_DEP_2) | instskip(NEXT) | instid1(VALU_DEP_2)
	v_lshlrev_b64_e32 v[18:19], 4, v[16:17]
	v_and_b32_e32 v16, 0xffff, v20
	s_delay_alu instid0(VALU_DEP_2) | instskip(SKIP_1) | instid1(VALU_DEP_3)
	v_add_co_u32 v18, s0, s4, v18
	s_wait_alu 0xf1ff
	v_add_co_ci_u32_e64 v19, s0, s5, v19, s0
	s_delay_alu instid0(VALU_DEP_3)
	v_lshlrev_b32_e32 v20, 5, v16
	s_mov_b32 s0, 0xe8584caa
	s_clause 0x3
	global_load_b128 v[23:26], v[18:19], off offset:1440
	global_load_b128 v[27:30], v[18:19], off offset:1456
	global_load_b128 v[31:34], v20, s[4:5] offset:1440
	global_load_b128 v[35:38], v20, s[4:5] offset:1456
	ds_load_2addr_b64 v[39:42], v68 offset0:41 offset1:140
	ds_load_2addr_b64 v[49:52], v69 offset0:111 offset1:210
	;; [unrolled: 1-line block ×3, first 2 shown]
	s_mov_b32 s1, 0x3febb67a
	s_wait_alu 0xfffe
	s_mov_b32 s2, s0
	v_lshlrev_b32_e32 v16, 3, v16
	s_delay_alu instid0(VALU_DEP_1)
	v_add3_u32 v16, 0, v16, v65
	s_wait_loadcnt_dscnt 0x302
	v_mul_f64_e32 v[20:21], v[39:40], v[25:26]
	s_wait_loadcnt_dscnt 0x201
	v_mul_f64_e32 v[57:58], v[51:52], v[29:30]
	v_mul_f64_e32 v[59:60], v[41:42], v[25:26]
	s_wait_dscnt 0x0
	v_mul_f64_e32 v[61:62], v[53:54], v[29:30]
	s_wait_loadcnt 0x1
	v_mul_f64_e32 v[63:64], v[49:50], v[33:34]
	s_wait_loadcnt 0x0
	v_mul_f64_e32 v[71:72], v[55:56], v[37:38]
	v_mul_f64_e32 v[73:74], v[8:9], v[25:26]
	;; [unrolled: 1-line block ×7, first 2 shown]
	v_fma_f64 v[8:9], v[8:9], v[23:24], -v[20:21]
	v_fma_f64 v[20:21], v[6:7], v[27:28], -v[57:58]
	;; [unrolled: 1-line block ×6, first 2 shown]
	v_fma_f64 v[39:40], v[39:40], v[23:24], v[73:74]
	v_fma_f64 v[51:52], v[51:52], v[27:28], v[75:76]
	;; [unrolled: 1-line block ×6, first 2 shown]
	ds_load_b64 v[53:54], v66
	ds_load_2addr_b64 v[4:7], v67 offset0:99 offset1:198
	global_wb scope:SCOPE_SE
	s_wait_dscnt 0x0
	s_barrier_signal -1
	s_barrier_wait -1
	global_inv scope:SCOPE_SE
	v_add_f64_e32 v[55:56], v[47:48], v[8:9]
	v_add_f64_e32 v[31:32], v[8:9], v[20:21]
	;; [unrolled: 1-line block ×6, first 2 shown]
	v_add_f64_e64 v[8:9], v[8:9], -v[20:21]
	v_add_f64_e32 v[37:38], v[39:40], v[51:52]
	v_add_f64_e64 v[59:60], v[39:40], -v[51:52]
	v_add_f64_e32 v[41:42], v[23:24], v[25:26]
	;; [unrolled: 2-line block ×3, first 2 shown]
	v_add_f64_e32 v[20:21], v[55:56], v[20:21]
	v_fma_f64 v[31:32], v[31:32], -0.5, v[47:48]
	v_add_f64_e64 v[47:48], v[23:24], -v[25:26]
	v_fma_f64 v[0:1], v[33:34], -0.5, v[0:1]
	v_add_f64_e64 v[33:34], v[27:28], -v[29:30]
	v_fma_f64 v[2:3], v[35:36], -0.5, v[2:3]
	v_add_f64_e32 v[35:36], v[53:54], v[39:40]
	v_add_f64_e32 v[23:24], v[4:5], v[23:24]
	;; [unrolled: 1-line block ×3, first 2 shown]
	v_fma_f64 v[37:38], v[37:38], -0.5, v[53:54]
	v_fma_f64 v[4:5], v[41:42], -0.5, v[4:5]
	v_add_f64_e64 v[39:40], v[57:58], -v[14:15]
	v_fma_f64 v[6:7], v[49:50], -0.5, v[6:7]
	v_add_f64_e32 v[12:13], v[61:62], v[12:13]
	v_add_f64_e32 v[14:15], v[63:64], v[14:15]
	v_add_nc_u32_e32 v53, 0x1000, v16
	v_fma_f64 v[41:42], v[59:60], s[0:1], v[31:32]
	s_wait_alu 0xfffe
	v_fma_f64 v[31:32], v[59:60], s[2:3], v[31:32]
	v_fma_f64 v[49:50], v[47:48], s[0:1], v[0:1]
	;; [unrolled: 1-line block ×5, first 2 shown]
	v_add_f64_e32 v[33:34], v[35:36], v[51:52]
	v_add_f64_e32 v[23:24], v[23:24], v[25:26]
	;; [unrolled: 1-line block ×3, first 2 shown]
	v_fma_f64 v[27:28], v[8:9], s[2:3], v[37:38]
	v_fma_f64 v[29:30], v[8:9], s[0:1], v[37:38]
	;; [unrolled: 1-line block ×6, first 2 shown]
	ds_store_2addr_b64 v67, v[20:21], v[41:42] offset1:99
	ds_store_2addr_b64 v43, v[31:32], v[12:13] offset0:70 offset1:169
	ds_store_2addr_b64 v68, v[49:50], v[0:1] offset0:140 offset1:239
	;; [unrolled: 1-line block ×3, first 2 shown]
	ds_store_b64 v16, v[2:3] offset:6336
	global_wb scope:SCOPE_SE
	s_wait_dscnt 0x0
	s_barrier_signal -1
	s_barrier_wait -1
	global_inv scope:SCOPE_SE
	ds_load_b64 v[20:21], v66
	ds_load_2addr_b64 v[12:15], v68 offset0:41 offset1:140
	ds_load_2addr_b64 v[4:7], v69 offset0:111 offset1:210
	;; [unrolled: 1-line block ×4, first 2 shown]
	global_wb scope:SCOPE_SE
	s_wait_dscnt 0x0
	s_barrier_signal -1
	s_barrier_wait -1
	global_inv scope:SCOPE_SE
	ds_store_2addr_b64 v67, v[33:34], v[27:28] offset1:99
	ds_store_2addr_b64 v43, v[29:30], v[23:24] offset0:70 offset1:169
	ds_store_2addr_b64 v68, v[35:36], v[37:38] offset0:140 offset1:239
	;; [unrolled: 1-line block ×3, first 2 shown]
	ds_store_b64 v16, v[39:40] offset:6336
	global_wb scope:SCOPE_SE
	s_wait_dscnt 0x0
	s_barrier_signal -1
	s_barrier_wait -1
	global_inv scope:SCOPE_SE
	s_and_saveexec_b32 s6, vcc_lo
	s_cbranch_execz .LBB0_21
; %bb.20:
	v_lshlrev_b32_e32 v16, 1, v22
	s_clause 0x1
	global_load_b128 v[23:26], v[18:19], off offset:4624
	global_load_b128 v[27:30], v[18:19], off offset:4608
	v_lshlrev_b64_e32 v[31:32], 4, v[16:17]
	v_lshl_add_u32 v16, v46, 1, 0xc6
	s_delay_alu instid0(VALU_DEP_1) | instskip(NEXT) | instid1(VALU_DEP_3)
	v_lshlrev_b64_e32 v[18:19], 4, v[16:17]
	v_add_co_u32 v35, vcc_lo, s4, v31
	s_wait_alu 0xfffd
	s_delay_alu instid0(VALU_DEP_4) | instskip(SKIP_1) | instid1(VALU_DEP_4)
	v_add_co_ci_u32_e32 v36, vcc_lo, s5, v32, vcc_lo
	v_add_nc_u32_e32 v16, 0x800, v67
	v_add_co_u32 v18, vcc_lo, s4, v18
	s_wait_alu 0xfffd
	v_add_co_ci_u32_e32 v19, vcc_lo, s5, v19, vcc_lo
	s_clause 0x3
	global_load_b128 v[31:34], v[35:36], off offset:4608
	global_load_b128 v[35:38], v[35:36], off offset:4624
	;; [unrolled: 1-line block ×4, first 2 shown]
	v_add_nc_u32_e32 v18, 0xc00, v67
	ds_load_2addr_b64 v[51:54], v16 offset0:41 offset1:140
	ds_load_2addr_b64 v[55:58], v18 offset0:111 offset1:210
	v_add_nc_u32_e32 v16, 0x1400, v67
	ds_load_2addr_b64 v[59:62], v16 offset0:53 offset1:152
	v_mul_hi_u32 v16, 0xdca8f159, v22
	v_add_co_u32 v22, vcc_lo, s8, v44
	s_delay_alu instid0(VALU_DEP_2) | instskip(NEXT) | instid1(VALU_DEP_1)
	v_lshrrev_b32_e32 v16, 8, v16
	v_mul_u32_u24_e32 v16, 0x252, v16
	s_wait_loadcnt_dscnt 0x501
	v_mul_f64_e32 v[63:64], v[57:58], v[25:26]
	s_wait_loadcnt 0x4
	v_mul_f64_e32 v[18:19], v[51:52], v[29:30]
	v_mul_f64_e32 v[29:30], v[12:13], v[29:30]
	;; [unrolled: 1-line block ×3, first 2 shown]
	s_wait_loadcnt 0x3
	v_mul_f64_e32 v[68:69], v[4:5], v[33:34]
	s_wait_loadcnt 0x2
	v_mul_f64_e32 v[70:71], v[10:11], v[37:38]
	;; [unrolled: 2-line block ×3, first 2 shown]
	v_mul_f64_e32 v[41:42], v[14:15], v[41:42]
	s_wait_loadcnt 0x0
	v_mul_f64_e32 v[74:75], v[8:9], v[49:50]
	s_wait_dscnt 0x0
	v_mul_f64_e32 v[49:50], v[59:60], v[49:50]
	v_mul_f64_e32 v[33:34], v[55:56], v[33:34]
	;; [unrolled: 1-line block ×3, first 2 shown]
	v_fma_f64 v[12:13], v[12:13], v[27:28], -v[18:19]
	v_fma_f64 v[18:19], v[6:7], v[23:24], -v[63:64]
	v_fma_f64 v[27:28], v[27:28], v[51:52], v[29:30]
	v_fma_f64 v[23:24], v[23:24], v[57:58], v[25:26]
	;; [unrolled: 1-line block ×4, first 2 shown]
	v_fma_f64 v[14:15], v[14:15], v[39:40], -v[72:73]
	v_fma_f64 v[39:40], v[39:40], v[53:54], v[41:42]
	v_fma_f64 v[41:42], v[47:48], v[59:60], v[74:75]
	v_fma_f64 v[8:9], v[8:9], v[47:48], -v[49:50]
	v_fma_f64 v[31:32], v[4:5], v[31:32], -v[33:34]
	;; [unrolled: 1-line block ×3, first 2 shown]
	ds_load_b64 v[53:54], v66
	ds_load_2addr_b64 v[4:7], v67 offset0:99 offset1:198
	v_add_f64_e32 v[35:36], v[12:13], v[18:19]
	v_add_f64_e64 v[55:56], v[12:13], -v[18:19]
	v_add_f64_e32 v[33:34], v[27:28], v[23:24]
	v_add_f64_e32 v[12:13], v[20:21], v[12:13]
	s_wait_dscnt 0x1
	v_add_f64_e32 v[57:58], v[27:28], v[53:54]
	v_add_f64_e64 v[27:28], v[27:28], -v[23:24]
	s_wait_dscnt 0x0
	v_add_f64_e32 v[61:62], v[25:26], v[6:7]
	v_add_f64_e32 v[37:38], v[25:26], v[29:30]
	;; [unrolled: 1-line block ×6, first 2 shown]
	v_add_f64_e64 v[39:40], v[39:40], -v[41:42]
	v_add_f64_e32 v[51:52], v[31:32], v[10:11]
	v_add_f64_e64 v[59:60], v[31:32], -v[10:11]
	v_add_f64_e32 v[31:32], v[2:3], v[31:32]
	v_add_f64_e64 v[67:68], v[25:26], -v[29:30]
	v_fma_f64 v[35:36], v[35:36], -0.5, v[20:21]
	v_fma_f64 v[33:34], v[33:34], -0.5, v[53:54]
	v_add_f64_e64 v[53:54], v[14:15], -v[8:9]
	v_fma_f64 v[37:38], v[37:38], -0.5, v[6:7]
	v_add_f64_e32 v[8:9], v[65:66], v[8:9]
	v_add_f64_e32 v[6:7], v[29:30], v[61:62]
	v_fma_f64 v[47:48], v[47:48], -0.5, v[4:5]
	v_fma_f64 v[49:50], v[49:50], -0.5, v[0:1]
	v_add_f64_e32 v[0:1], v[12:13], v[18:19]
	v_fma_f64 v[51:52], v[51:52], -0.5, v[2:3]
	v_add_f64_e32 v[2:3], v[57:58], v[23:24]
	v_add_f64_e32 v[4:5], v[31:32], v[10:11]
	;; [unrolled: 1-line block ×3, first 2 shown]
	s_wait_alu 0xfffd
	v_add_co_ci_u32_e32 v41, vcc_lo, s9, v45, vcc_lo
	v_fma_f64 v[18:19], v[27:28], s[0:1], v[35:36]
	v_fma_f64 v[12:13], v[27:28], s[2:3], v[35:36]
	;; [unrolled: 1-line block ×9, first 2 shown]
	v_mov_b32_e32 v47, v17
	v_fma_f64 v[31:32], v[39:40], s[2:3], v[49:50]
	v_fma_f64 v[35:36], v[67:68], s[0:1], v[51:52]
	v_fma_f64 v[23:24], v[67:68], s[2:3], v[51:52]
	v_lshlrev_b64_e32 v[16:17], 4, v[16:17]
	v_lshlrev_b64_e32 v[39:40], 4, v[46:47]
	s_delay_alu instid0(VALU_DEP_1) | instskip(SKIP_1) | instid1(VALU_DEP_2)
	v_add_co_u32 v39, vcc_lo, v22, v39
	s_wait_alu 0xfffd
	v_add_co_ci_u32_e32 v40, vcc_lo, v41, v40, vcc_lo
	s_delay_alu instid0(VALU_DEP_2) | instskip(SKIP_1) | instid1(VALU_DEP_2)
	v_add_co_u32 v16, vcc_lo, v39, v16
	s_wait_alu 0xfffd
	v_add_co_ci_u32_e32 v17, vcc_lo, v40, v17, vcc_lo
	s_clause 0x8
	global_store_b128 v[39:40], v[0:3], off
	global_store_b128 v[39:40], v[8:11], off offset:1584
	global_store_b128 v[39:40], v[18:21], off offset:4752
	;; [unrolled: 1-line block ×8, first 2 shown]
.LBB0_21:
	s_nop 0
	s_sendmsg sendmsg(MSG_DEALLOC_VGPRS)
	s_endpgm
	.section	.rodata,"a",@progbits
	.p2align	6, 0x0
	.amdhsa_kernel fft_rtc_fwd_len891_factors_9_11_3_3_wgs_198_tpt_99_halfLds_dp_ip_CI_unitstride_sbrr_dirReg
		.amdhsa_group_segment_fixed_size 0
		.amdhsa_private_segment_fixed_size 0
		.amdhsa_kernarg_size 88
		.amdhsa_user_sgpr_count 2
		.amdhsa_user_sgpr_dispatch_ptr 0
		.amdhsa_user_sgpr_queue_ptr 0
		.amdhsa_user_sgpr_kernarg_segment_ptr 1
		.amdhsa_user_sgpr_dispatch_id 0
		.amdhsa_user_sgpr_private_segment_size 0
		.amdhsa_wavefront_size32 1
		.amdhsa_uses_dynamic_stack 0
		.amdhsa_enable_private_segment 0
		.amdhsa_system_sgpr_workgroup_id_x 1
		.amdhsa_system_sgpr_workgroup_id_y 0
		.amdhsa_system_sgpr_workgroup_id_z 0
		.amdhsa_system_sgpr_workgroup_info 0
		.amdhsa_system_vgpr_workitem_id 0
		.amdhsa_next_free_vgpr 129
		.amdhsa_next_free_sgpr 32
		.amdhsa_reserve_vcc 1
		.amdhsa_float_round_mode_32 0
		.amdhsa_float_round_mode_16_64 0
		.amdhsa_float_denorm_mode_32 3
		.amdhsa_float_denorm_mode_16_64 3
		.amdhsa_fp16_overflow 0
		.amdhsa_workgroup_processor_mode 1
		.amdhsa_memory_ordered 1
		.amdhsa_forward_progress 0
		.amdhsa_round_robin_scheduling 0
		.amdhsa_exception_fp_ieee_invalid_op 0
		.amdhsa_exception_fp_denorm_src 0
		.amdhsa_exception_fp_ieee_div_zero 0
		.amdhsa_exception_fp_ieee_overflow 0
		.amdhsa_exception_fp_ieee_underflow 0
		.amdhsa_exception_fp_ieee_inexact 0
		.amdhsa_exception_int_div_zero 0
	.end_amdhsa_kernel
	.text
.Lfunc_end0:
	.size	fft_rtc_fwd_len891_factors_9_11_3_3_wgs_198_tpt_99_halfLds_dp_ip_CI_unitstride_sbrr_dirReg, .Lfunc_end0-fft_rtc_fwd_len891_factors_9_11_3_3_wgs_198_tpt_99_halfLds_dp_ip_CI_unitstride_sbrr_dirReg
                                        ; -- End function
	.section	.AMDGPU.csdata,"",@progbits
; Kernel info:
; codeLenInByte = 7624
; NumSgprs: 34
; NumVgprs: 129
; ScratchSize: 0
; MemoryBound: 1
; FloatMode: 240
; IeeeMode: 1
; LDSByteSize: 0 bytes/workgroup (compile time only)
; SGPRBlocks: 4
; VGPRBlocks: 16
; NumSGPRsForWavesPerEU: 34
; NumVGPRsForWavesPerEU: 129
; Occupancy: 10
; WaveLimiterHint : 1
; COMPUTE_PGM_RSRC2:SCRATCH_EN: 0
; COMPUTE_PGM_RSRC2:USER_SGPR: 2
; COMPUTE_PGM_RSRC2:TRAP_HANDLER: 0
; COMPUTE_PGM_RSRC2:TGID_X_EN: 1
; COMPUTE_PGM_RSRC2:TGID_Y_EN: 0
; COMPUTE_PGM_RSRC2:TGID_Z_EN: 0
; COMPUTE_PGM_RSRC2:TIDIG_COMP_CNT: 0
	.text
	.p2alignl 7, 3214868480
	.fill 96, 4, 3214868480
	.type	__hip_cuid_1074b54b7972f5dc,@object ; @__hip_cuid_1074b54b7972f5dc
	.section	.bss,"aw",@nobits
	.globl	__hip_cuid_1074b54b7972f5dc
__hip_cuid_1074b54b7972f5dc:
	.byte	0                               ; 0x0
	.size	__hip_cuid_1074b54b7972f5dc, 1

	.ident	"AMD clang version 19.0.0git (https://github.com/RadeonOpenCompute/llvm-project roc-6.4.0 25133 c7fe45cf4b819c5991fe208aaa96edf142730f1d)"
	.section	".note.GNU-stack","",@progbits
	.addrsig
	.addrsig_sym __hip_cuid_1074b54b7972f5dc
	.amdgpu_metadata
---
amdhsa.kernels:
  - .args:
      - .actual_access:  read_only
        .address_space:  global
        .offset:         0
        .size:           8
        .value_kind:     global_buffer
      - .offset:         8
        .size:           8
        .value_kind:     by_value
      - .actual_access:  read_only
        .address_space:  global
        .offset:         16
        .size:           8
        .value_kind:     global_buffer
      - .actual_access:  read_only
        .address_space:  global
        .offset:         24
        .size:           8
        .value_kind:     global_buffer
      - .offset:         32
        .size:           8
        .value_kind:     by_value
      - .actual_access:  read_only
        .address_space:  global
        .offset:         40
        .size:           8
        .value_kind:     global_buffer
      - .actual_access:  read_only
        .address_space:  global
        .offset:         48
        .size:           8
        .value_kind:     global_buffer
      - .offset:         56
        .size:           4
        .value_kind:     by_value
      - .actual_access:  read_only
        .address_space:  global
        .offset:         64
        .size:           8
        .value_kind:     global_buffer
      - .actual_access:  read_only
        .address_space:  global
        .offset:         72
        .size:           8
        .value_kind:     global_buffer
      - .address_space:  global
        .offset:         80
        .size:           8
        .value_kind:     global_buffer
    .group_segment_fixed_size: 0
    .kernarg_segment_align: 8
    .kernarg_segment_size: 88
    .language:       OpenCL C
    .language_version:
      - 2
      - 0
    .max_flat_workgroup_size: 198
    .name:           fft_rtc_fwd_len891_factors_9_11_3_3_wgs_198_tpt_99_halfLds_dp_ip_CI_unitstride_sbrr_dirReg
    .private_segment_fixed_size: 0
    .sgpr_count:     34
    .sgpr_spill_count: 0
    .symbol:         fft_rtc_fwd_len891_factors_9_11_3_3_wgs_198_tpt_99_halfLds_dp_ip_CI_unitstride_sbrr_dirReg.kd
    .uniform_work_group_size: 1
    .uses_dynamic_stack: false
    .vgpr_count:     129
    .vgpr_spill_count: 0
    .wavefront_size: 32
    .workgroup_processor_mode: 1
amdhsa.target:   amdgcn-amd-amdhsa--gfx1201
amdhsa.version:
  - 1
  - 2
...

	.end_amdgpu_metadata
